;; amdgpu-corpus repo=ROCm/rocFFT kind=compiled arch=gfx1030 opt=O3
	.text
	.amdgcn_target "amdgcn-amd-amdhsa--gfx1030"
	.amdhsa_code_object_version 6
	.protected	bluestein_single_back_len750_dim1_sp_op_CI_CI ; -- Begin function bluestein_single_back_len750_dim1_sp_op_CI_CI
	.globl	bluestein_single_back_len750_dim1_sp_op_CI_CI
	.p2align	8
	.type	bluestein_single_back_len750_dim1_sp_op_CI_CI,@function
bluestein_single_back_len750_dim1_sp_op_CI_CI: ; @bluestein_single_back_len750_dim1_sp_op_CI_CI
; %bb.0:
	s_load_dwordx4 s[0:3], s[4:5], 0x28
	v_mul_u32_u24_e32 v1, 0x107, v0
	v_mov_b32_e32 v43, 0
	v_lshrrev_b32_e32 v1, 16, v1
	v_add_nc_u32_e32 v42, s6, v1
	s_waitcnt lgkmcnt(0)
	v_cmp_gt_u64_e32 vcc_lo, s[0:1], v[42:43]
	s_and_saveexec_b32 s0, vcc_lo
	s_cbranch_execz .LBB0_31
; %bb.1:
	s_clause 0x1
	s_load_dwordx2 s[14:15], s[4:5], 0x0
	s_load_dwordx2 s[12:13], s[4:5], 0x38
	v_mul_lo_u16 v1, 0xfa, v1
	v_sub_nc_u16 v0, v0, v1
	v_and_b32_e32 v44, 0xffff, v0
	v_cmp_gt_u16_e32 vcc_lo, 0x4b, v0
	v_lshlrev_b32_e32 v43, 3, v44
	s_and_saveexec_b32 s1, vcc_lo
	s_cbranch_execz .LBB0_3
; %bb.2:
	s_load_dwordx2 s[6:7], s[4:5], 0x18
	s_waitcnt lgkmcnt(0)
	v_add_co_u32 v16, s0, s14, v43
	v_add_co_ci_u32_e64 v17, null, s15, 0, s0
	v_add_nc_u32_e32 v45, 0x800, v43
	v_add_co_u32 v14, s0, 0x800, v16
	v_add_co_ci_u32_e64 v15, s0, 0, v17, s0
	v_add_nc_u32_e32 v46, 0xc00, v43
	s_load_dwordx4 s[8:11], s[6:7], 0x0
	s_waitcnt lgkmcnt(0)
	v_mad_u64_u32 v[0:1], null, s10, v42, 0
	v_mad_u64_u32 v[2:3], null, s8, v44, 0
	s_mul_i32 s6, s9, 0x258
	s_mul_hi_u32 s7, s8, 0x258
	s_add_i32 s7, s7, s6
	v_mad_u64_u32 v[4:5], null, s11, v42, v[1:2]
	v_mad_u64_u32 v[5:6], null, s9, v44, v[3:4]
	v_mov_b32_e32 v1, v4
	v_add_co_u32 v4, s0, 0x1000, v16
	s_clause 0x3
	global_load_dwordx2 v[6:7], v43, s[14:15]
	global_load_dwordx2 v[8:9], v43, s[14:15] offset:600
	global_load_dwordx2 v[10:11], v43, s[14:15] offset:1200
	;; [unrolled: 1-line block ×3, first 2 shown]
	v_lshlrev_b64 v[0:1], 3, v[0:1]
	v_mov_b32_e32 v3, v5
	v_add_co_ci_u32_e64 v5, s0, 0, v17, s0
	s_clause 0x2
	global_load_dwordx2 v[16:17], v[14:15], off offset:352
	global_load_dwordx2 v[18:19], v[14:15], off offset:952
	;; [unrolled: 1-line block ×3, first 2 shown]
	v_lshlrev_b64 v[2:3], 3, v[2:3]
	v_add_co_u32 v0, s0, s2, v0
	v_add_co_ci_u32_e64 v1, s0, s3, v1, s0
	s_mul_i32 s2, s8, 0x258
	v_add_co_u32 v0, s0, v0, v2
	v_add_co_ci_u32_e64 v1, s0, v1, v3, s0
	global_load_dwordx2 v[22:23], v[4:5], off offset:104
	v_add_co_u32 v2, s0, v0, s2
	v_add_co_ci_u32_e64 v3, s0, s7, v1, s0
	global_load_dwordx2 v[0:1], v[0:1], off
	v_add_co_u32 v20, s0, v2, s2
	v_add_co_ci_u32_e64 v21, s0, s7, v3, s0
	v_add_co_u32 v24, s0, v20, s2
	v_add_co_ci_u32_e64 v25, s0, s7, v21, s0
	;; [unrolled: 2-line block ×3, first 2 shown]
	s_clause 0x2
	global_load_dwordx2 v[2:3], v[2:3], off
	global_load_dwordx2 v[20:21], v[20:21], off
	;; [unrolled: 1-line block ×3, first 2 shown]
	v_add_co_u32 v28, s0, v26, s2
	v_add_co_ci_u32_e64 v29, s0, s7, v27, s0
	global_load_dwordx2 v[26:27], v[26:27], off
	v_add_co_u32 v30, s0, v28, s2
	v_add_co_ci_u32_e64 v31, s0, s7, v29, s0
	global_load_dwordx2 v[28:29], v[28:29], off
	;; [unrolled: 3-line block ×5, first 2 shown]
	s_clause 0x1
	global_load_dwordx2 v[38:39], v[4:5], off offset:704
	global_load_dwordx2 v[4:5], v[4:5], off offset:1304
	global_load_dwordx2 v[36:37], v[36:37], off
	s_waitcnt vmcnt(11)
	v_mul_f32_e32 v40, v1, v7
	v_mul_f32_e32 v41, v0, v7
	v_fmac_f32_e32 v40, v0, v6
	v_fma_f32 v41, v1, v6, -v41
	s_waitcnt vmcnt(10)
	v_mul_f32_e32 v7, v3, v9
	v_mul_f32_e32 v9, v2, v9
	s_waitcnt vmcnt(9)
	v_mul_f32_e32 v0, v21, v11
	v_mul_f32_e32 v1, v20, v11
	v_fmac_f32_e32 v7, v2, v8
	v_fma_f32 v8, v3, v8, -v9
	s_waitcnt vmcnt(7)
	v_mul_f32_e32 v6, v26, v17
	v_fmac_f32_e32 v0, v20, v10
	v_mul_f32_e32 v2, v25, v13
	v_mul_f32_e32 v3, v24, v13
	;; [unrolled: 1-line block ×3, first 2 shown]
	v_fma_f32 v1, v21, v10, -v1
	v_fma_f32 v10, v27, v16, -v6
	s_waitcnt vmcnt(6)
	v_mul_f32_e32 v6, v28, v19
	v_mul_f32_e32 v11, v29, v19
	v_fmac_f32_e32 v2, v24, v12
	v_fma_f32 v3, v25, v12, -v3
	v_fmac_f32_e32 v9, v26, v16
	s_waitcnt vmcnt(5)
	v_mul_f32_e32 v13, v31, v15
	v_mul_f32_e32 v16, v30, v15
	v_fma_f32 v12, v29, v18, -v6
	s_waitcnt vmcnt(4)
	v_mul_f32_e32 v15, v33, v23
	v_mul_f32_e32 v6, v32, v23
	v_fmac_f32_e32 v11, v28, v18
	s_waitcnt vmcnt(2)
	v_mul_f32_e32 v17, v35, v39
	v_mul_f32_e32 v18, v34, v39
	s_waitcnt vmcnt(0)
	v_mul_f32_e32 v19, v37, v5
	v_mul_f32_e32 v5, v36, v5
	v_fmac_f32_e32 v13, v30, v14
	v_fma_f32 v14, v31, v14, -v16
	v_fmac_f32_e32 v15, v32, v22
	v_fma_f32 v16, v33, v22, -v6
	;; [unrolled: 2-line block ×4, first 2 shown]
	v_add_nc_u32_e32 v4, 0x1000, v43
	ds_write2_b64 v43, v[40:41], v[7:8] offset1:75
	ds_write2_b64 v43, v[0:1], v[2:3] offset0:150 offset1:225
	ds_write2_b64 v45, v[9:10], v[11:12] offset0:44 offset1:119
	;; [unrolled: 1-line block ×4, first 2 shown]
.LBB0_3:
	s_or_b32 exec_lo, exec_lo, s1
	s_waitcnt lgkmcnt(0)
	s_barrier
	buffer_gl0_inv
                                        ; implicit-def: $vgpr0
                                        ; implicit-def: $vgpr12
                                        ; implicit-def: $vgpr16
                                        ; implicit-def: $vgpr8
                                        ; implicit-def: $vgpr4
	s_and_saveexec_b32 s0, vcc_lo
	s_cbranch_execz .LBB0_5
; %bb.4:
	v_add_nc_u32_e32 v4, 0x800, v43
	v_add_nc_u32_e32 v5, 0xc00, v43
	;; [unrolled: 1-line block ×3, first 2 shown]
	ds_read2_b64 v[0:3], v43 offset1:75
	ds_read2_b64 v[12:15], v43 offset0:150 offset1:225
	ds_read2_b64 v[16:19], v4 offset0:44 offset1:119
	;; [unrolled: 1-line block ×4, first 2 shown]
.LBB0_5:
	s_or_b32 exec_lo, exec_lo, s0
	s_waitcnt lgkmcnt(1)
	v_add_f32_e32 v20, v16, v8
	v_add_f32_e32 v21, v0, v12
	s_waitcnt lgkmcnt(0)
	v_sub_f32_e32 v22, v13, v5
	v_add_f32_e32 v25, v12, v4
	v_sub_f32_e32 v23, v17, v9
	v_fma_f32 v27, -0.5, v20, v0
	v_sub_f32_e32 v20, v12, v16
	v_sub_f32_e32 v24, v4, v8
	v_add_f32_e32 v21, v21, v16
	v_fmac_f32_e32 v0, -0.5, v25
	v_fmamk_f32 v28, v22, 0x3f737871, v27
	v_fmac_f32_e32 v27, 0xbf737871, v22
	v_add_f32_e32 v25, v1, v13
	v_add_f32_e32 v20, v20, v24
	;; [unrolled: 1-line block ×3, first 2 shown]
	v_fmac_f32_e32 v28, 0x3f167918, v23
	v_fmamk_f32 v29, v23, 0xbf737871, v0
	v_fmac_f32_e32 v27, 0xbf167918, v23
	v_add_f32_e32 v30, v17, v9
	v_fmac_f32_e32 v0, 0x3f737871, v23
	v_add_f32_e32 v23, v25, v17
	v_sub_f32_e32 v26, v16, v12
	v_sub_f32_e32 v24, v8, v4
	v_add_f32_e32 v21, v21, v4
	v_fmac_f32_e32 v28, 0x3e9e377a, v20
	v_fma_f32 v32, -0.5, v30, v1
	v_sub_f32_e32 v4, v12, v4
	v_fmac_f32_e32 v27, 0x3e9e377a, v20
	v_add_f32_e32 v12, v23, v9
	v_add_f32_e32 v20, v13, v5
	v_fmac_f32_e32 v29, 0x3f167918, v22
	v_fmac_f32_e32 v0, 0xbf167918, v22
	v_fmamk_f32 v23, v4, 0xbf737871, v32
	v_sub_f32_e32 v8, v16, v8
	v_sub_f32_e32 v16, v13, v17
	;; [unrolled: 1-line block ×3, first 2 shown]
	v_fmac_f32_e32 v1, -0.5, v20
	v_add_f32_e32 v31, v12, v5
	v_fmac_f32_e32 v32, 0x3f737871, v4
	v_sub_f32_e32 v5, v9, v5
	v_add_f32_e32 v9, v2, v14
	v_fmac_f32_e32 v23, 0xbf167918, v8
	v_add_f32_e32 v12, v16, v22
	v_fmamk_f32 v16, v8, 0x3f737871, v1
	v_sub_f32_e32 v13, v17, v13
	v_fmac_f32_e32 v32, 0x3f167918, v8
	v_fmac_f32_e32 v1, 0xbf737871, v8
	v_add_f32_e32 v8, v9, v18
	v_add_f32_e32 v9, v18, v10
	v_fmac_f32_e32 v23, 0x3e9e377a, v12
	v_fmac_f32_e32 v16, 0xbf167918, v4
	v_add_f32_e32 v5, v13, v5
	v_fmac_f32_e32 v32, 0x3e9e377a, v12
	v_fmac_f32_e32 v1, 0x3f167918, v4
	v_add_f32_e32 v4, v8, v10
	v_fma_f32 v9, -0.5, v9, v2
	v_add_f32_e32 v8, v14, v6
	v_sub_f32_e32 v12, v15, v7
	v_fmac_f32_e32 v16, 0x3e9e377a, v5
	v_fmac_f32_e32 v1, 0x3e9e377a, v5
	v_sub_f32_e32 v5, v19, v11
	v_fmac_f32_e32 v2, -0.5, v8
	v_fmamk_f32 v13, v12, 0x3f737871, v9
	v_sub_f32_e32 v8, v14, v18
	v_sub_f32_e32 v17, v6, v10
	v_fmac_f32_e32 v9, 0xbf737871, v12
	v_add_f32_e32 v24, v26, v24
	v_fmac_f32_e32 v13, 0x3f167918, v5
	v_fmamk_f32 v20, v5, 0xbf737871, v2
	v_add_f32_e32 v8, v8, v17
	v_fmac_f32_e32 v9, 0xbf167918, v5
	v_fmac_f32_e32 v29, 0x3e9e377a, v24
	;; [unrolled: 1-line block ×3, first 2 shown]
	v_sub_f32_e32 v22, v18, v14
	v_sub_f32_e32 v24, v10, v6
	v_fmac_f32_e32 v2, 0x3f737871, v5
	v_fmac_f32_e32 v13, 0x3e9e377a, v8
	;; [unrolled: 1-line block ×3, first 2 shown]
	v_add_f32_e32 v5, v19, v11
	v_add_f32_e32 v8, v15, v7
	;; [unrolled: 1-line block ×3, first 2 shown]
	v_fmac_f32_e32 v20, 0x3f167918, v12
	v_add_f32_e32 v17, v22, v24
	v_fmac_f32_e32 v2, 0xbf167918, v12
	v_add_f32_e32 v12, v3, v15
	v_fma_f32 v5, -0.5, v5, v3
	v_sub_f32_e32 v6, v14, v6
	v_sub_f32_e32 v10, v18, v10
	v_fmac_f32_e32 v3, -0.5, v8
	v_fmac_f32_e32 v20, 0x3e9e377a, v17
	v_fmac_f32_e32 v2, 0x3e9e377a, v17
	v_add_f32_e32 v8, v12, v19
	v_fmamk_f32 v17, v6, 0xbf737871, v5
	v_sub_f32_e32 v12, v15, v19
	v_fmamk_f32 v18, v10, 0x3f737871, v3
	v_sub_f32_e32 v14, v19, v15
	v_sub_f32_e32 v15, v11, v7
	;; [unrolled: 1-line block ×3, first 2 shown]
	v_fmac_f32_e32 v3, 0xbf737871, v10
	v_fmac_f32_e32 v5, 0x3f737871, v6
	;; [unrolled: 1-line block ×3, first 2 shown]
	v_add_f32_e32 v14, v14, v15
	v_add_f32_e32 v12, v12, v19
	v_fmac_f32_e32 v3, 0x3f167918, v6
	v_fmac_f32_e32 v5, 0x3f167918, v10
	s_load_dwordx2 s[2:3], s[4:5], 0x8
	v_fmac_f32_e32 v17, 0xbf167918, v10
	v_add_f32_e32 v6, v8, v11
	v_fmac_f32_e32 v18, 0x3e9e377a, v14
	v_fmac_f32_e32 v3, 0x3e9e377a, v14
	v_mul_f32_e32 v8, 0x3e9e377a, v2
	v_fmac_f32_e32 v5, 0x3e9e377a, v12
	v_mul_f32_e32 v11, 0x3f4f1bbd, v9
	;; [unrolled: 2-line block ×3, first 2 shown]
	v_mul_f32_e32 v22, 0x3f737871, v18
	v_add_f32_e32 v6, v6, v7
	v_fma_f32 v7, 0x3f737871, v3, -v8
	v_fma_f32 v33, 0x3f167918, v5, -v11
	v_mul_f32_e32 v34, 0xbf167918, v13
	v_mul_f32_e32 v35, 0xbf737871, v20
	;; [unrolled: 1-line block ×4, first 2 shown]
	v_fmac_f32_e32 v19, 0x3f167918, v17
	v_fmac_f32_e32 v22, 0x3e9e377a, v20
	v_fmac_f32_e32 v34, 0x3f4f1bbd, v17
	v_fmac_f32_e32 v35, 0x3e9e377a, v18
	v_fma_f32 v2, 0xbf737871, v2, -v3
	v_fma_f32 v3, 0xbf167918, v9, -v5
	v_add_f32_e32 v8, v21, v4
	v_add_f32_e32 v10, v28, v19
	;; [unrolled: 1-line block ×10, first 2 shown]
	v_sub_f32_e32 v26, v21, v4
	v_sub_f32_e32 v28, v28, v19
	;; [unrolled: 1-line block ×10, first 2 shown]
	v_mul_lo_u16 v47, v44, 10
	s_waitcnt lgkmcnt(0)
	s_barrier
	buffer_gl0_inv
	s_and_saveexec_b32 s0, vcc_lo
	s_cbranch_execz .LBB0_7
; %bb.6:
	v_mov_b32_e32 v0, 3
	v_lshlrev_b32_sdwa v0, v0, v47 dst_sel:DWORD dst_unused:UNUSED_PAD src0_sel:DWORD src1_sel:WORD_0
	ds_write_b128 v0, v[8:11]
	ds_write_b128 v0, v[12:15] offset:16
	ds_write_b128 v0, v[24:27] offset:32
	;; [unrolled: 1-line block ×4, first 2 shown]
.LBB0_7:
	s_or_b32 exec_lo, exec_lo, s0
	s_load_dwordx2 s[4:5], s[4:5], 0x20
	v_cmp_gt_u16_e64 s0, 0x96, v44
	s_waitcnt lgkmcnt(0)
	s_barrier
	buffer_gl0_inv
	s_and_saveexec_b32 s1, s0
	s_cbranch_execz .LBB0_9
; %bb.8:
	v_add_nc_u32_e32 v0, 0x800, v43
	ds_read2_b64 v[8:11], v43 offset1:150
	ds_read2_b64 v[12:15], v0 offset0:44 offset1:194
	ds_read_b64 v[24:25], v43 offset:4800
.LBB0_9:
	s_or_b32 exec_lo, exec_lo, s1
	v_and_b32_e32 v16, 0xff, v44
	v_mul_lo_u16 v0, 0xcd, v16
	v_lshrrev_b16 v46, 11, v0
	v_mul_lo_u16 v0, v46, 10
	v_sub_nc_u16 v0, v44, v0
	v_and_b32_e32 v45, 0xff, v0
	v_lshlrev_b32_e32 v0, 5, v45
	s_clause 0x1
	global_load_dwordx4 v[4:7], v0, s[2:3]
	global_load_dwordx4 v[0:3], v0, s[2:3] offset:16
	s_waitcnt vmcnt(0) lgkmcnt(0)
	s_barrier
	buffer_gl0_inv
	v_mul_f32_e32 v33, v11, v5
	v_mul_f32_e32 v32, v10, v5
	;; [unrolled: 1-line block ×8, first 2 shown]
	v_fmac_f32_e32 v32, v11, v4
	v_fma_f32 v12, v12, v6, -v34
	v_fmac_f32_e32 v19, v13, v6
	v_fma_f32 v11, v14, v0, -v35
	v_fmac_f32_e32 v18, v25, v2
	v_fmac_f32_e32 v17, v15, v0
	v_fma_f32 v13, v10, v4, -v33
	v_fma_f32 v10, v24, v2, -v36
	v_add_f32_e32 v24, v12, v11
	v_add_f32_e32 v48, v32, v18
	;; [unrolled: 1-line block ×3, first 2 shown]
	v_sub_f32_e32 v25, v13, v12
	v_sub_f32_e32 v33, v10, v11
	v_add_f32_e32 v37, v13, v10
	v_sub_f32_e32 v14, v32, v18
	v_sub_f32_e32 v15, v19, v17
	;; [unrolled: 1-line block ×6, first 2 shown]
	v_fma_f32 v34, -0.5, v24, v8
	v_add_f32_e32 v50, v25, v33
	v_fma_f32 v33, -0.5, v37, v8
	v_fma_f32 v40, -0.5, v40, v9
	;; [unrolled: 1-line block ×3, first 2 shown]
	v_sub_f32_e32 v41, v32, v19
	v_sub_f32_e32 v49, v18, v17
	;; [unrolled: 1-line block ×4, first 2 shown]
	v_add_f32_e32 v37, v38, v39
	v_fmamk_f32 v24, v14, 0xbf737871, v34
	v_fmamk_f32 v38, v15, 0x3f737871, v33
	;; [unrolled: 1-line block ×4, first 2 shown]
	v_add_f32_e32 v41, v41, v49
	v_add_f32_e32 v49, v51, v52
	v_fmac_f32_e32 v24, 0xbf167918, v15
	v_fmac_f32_e32 v38, 0xbf167918, v14
	;; [unrolled: 1-line block ×8, first 2 shown]
	s_and_saveexec_b32 s1, s0
	s_cbranch_execz .LBB0_11
; %bb.10:
	v_mul_f32_e32 v51, 0x3f737871, v14
	v_mul_f32_e32 v54, 0x3f737871, v35
	v_add_f32_e32 v32, v9, v32
	v_add_f32_e32 v8, v8, v13
	v_mul_f32_e32 v52, 0x3f167918, v15
	v_mul_f32_e32 v53, 0x3f737871, v36
	;; [unrolled: 1-line block ×4, first 2 shown]
	v_sub_f32_e32 v40, v40, v54
	v_add_f32_e32 v19, v32, v19
	v_add_f32_e32 v32, v34, v51
	;; [unrolled: 1-line block ×3, first 2 shown]
	v_mov_b32_e32 v12, 50
	v_mul_f32_e32 v35, 0x3f167918, v35
	v_add_f32_e32 v48, v53, v48
	v_mul_f32_e32 v14, 0x3f167918, v14
	v_sub_f32_e32 v15, v33, v15
	v_mul_f32_e32 v50, 0x3e9e377a, v50
	v_mul_f32_e32 v41, 0x3e9e377a, v41
	v_sub_f32_e32 v36, v40, v36
	v_add_f32_e32 v17, v19, v17
	v_add_f32_e32 v19, v52, v32
	v_add_f32_e32 v8, v8, v11
	v_mul_u32_u24_sdwa v32, v46, v12 dst_sel:DWORD dst_unused:UNUSED_PAD src0_sel:WORD_0 src1_sel:DWORD
	v_mul_f32_e32 v49, 0x3e9e377a, v49
	v_sub_f32_e32 v35, v48, v35
	v_mul_f32_e32 v37, 0x3e9e377a, v37
	v_add_f32_e32 v14, v14, v15
	v_add_f32_e32 v13, v41, v36
	;; [unrolled: 1-line block ×5, first 2 shown]
	v_add_lshl_u32 v15, v32, v45, 3
	v_add_f32_e32 v9, v49, v35
	v_add_f32_e32 v8, v37, v14
	ds_write2_b64 v15, v[10:11], v[12:13] offset1:10
	ds_write2_b64 v15, v[8:9], v[38:39] offset0:20 offset1:30
	ds_write_b64 v15, v[24:25] offset:320
.LBB0_11:
	s_or_b32 exec_lo, exec_lo, s1
	v_mul_lo_u16 v8, v16, 41
	s_load_dwordx4 s[4:7], s[4:5], 0x0
	s_waitcnt lgkmcnt(0)
	s_barrier
	buffer_gl0_inv
	v_lshrrev_b16 v18, 11, v8
	v_mov_b32_e32 v32, 0x96
	v_mul_lo_u16 v8, v18, 50
	v_mul_u32_u24_sdwa v18, v18, v32 dst_sel:DWORD dst_unused:UNUSED_PAD src0_sel:WORD_0 src1_sel:DWORD
	v_sub_nc_u16 v8, v44, v8
	v_and_b32_e32 v19, 0xff, v8
	v_lshlrev_b32_e32 v8, 4, v19
	v_add_lshl_u32 v48, v18, v19, 3
	global_load_dwordx4 v[8:11], v8, s[2:3] offset:320
	ds_read2_b64 v[12:15], v43 offset1:250
	ds_read_b64 v[16:17], v43 offset:4000
	s_waitcnt vmcnt(0) lgkmcnt(0)
	s_barrier
	buffer_gl0_inv
	v_mul_f32_e32 v33, v15, v9
	v_mul_f32_e32 v34, v17, v11
	;; [unrolled: 1-line block ×4, first 2 shown]
	v_fma_f32 v14, v14, v8, -v33
	v_fma_f32 v16, v16, v10, -v34
	v_fmac_f32_e32 v35, v15, v8
	v_fmac_f32_e32 v40, v17, v10
	v_add_f32_e32 v17, v12, v14
	v_add_f32_e32 v15, v14, v16
	;; [unrolled: 1-line block ×4, first 2 shown]
	v_sub_f32_e32 v19, v35, v40
	v_add_f32_e32 v32, v17, v16
	v_fma_f32 v36, -0.5, v15, v12
	v_sub_f32_e32 v12, v14, v16
	v_fma_f32 v37, -0.5, v18, v13
	v_add_f32_e32 v33, v33, v40
	v_fmamk_f32 v34, v19, 0x3f5db3d7, v36
	v_fmac_f32_e32 v36, 0xbf5db3d7, v19
	v_fmamk_f32 v35, v12, 0xbf5db3d7, v37
	v_fmac_f32_e32 v37, 0x3f5db3d7, v12
	ds_write2_b64 v48, v[32:33], v[34:35] offset1:50
	ds_write_b64 v48, v[36:37] offset:800
	s_waitcnt lgkmcnt(0)
	s_barrier
	buffer_gl0_inv
	s_and_saveexec_b32 s1, s0
	s_cbranch_execz .LBB0_13
; %bb.12:
	v_add_nc_u32_e32 v12, 0x800, v43
	ds_read2_b64 v[32:35], v43 offset1:150
	ds_read2_b64 v[36:39], v12 offset0:44 offset1:194
	ds_read_b64 v[24:25], v43 offset:4800
.LBB0_13:
	s_or_b32 exec_lo, exec_lo, s1
	v_lshlrev_b32_e32 v12, 2, v44
	v_add_co_u32 v14, s1, 0xfffffda8, v12
	v_add_co_ci_u32_e64 v13, null, 0, -1, s1
	v_cndmask_b32_e64 v12, v14, v12, s0
	v_cndmask_b32_e64 v13, v13, 0, s0
	v_lshlrev_b64 v[12:13], 3, v[12:13]
	v_add_co_u32 v12, s1, s2, v12
	v_add_co_ci_u32_e64 v13, s1, s3, v13, s1
	s_clause 0x1
	global_load_dwordx4 v[16:19], v[12:13], off offset:1120
	global_load_dwordx4 v[12:15], v[12:13], off offset:1136
	s_waitcnt vmcnt(1) lgkmcnt(2)
	v_mul_f32_e32 v40, v35, v17
	v_mul_f32_e32 v41, v34, v17
	s_waitcnt lgkmcnt(1)
	v_mul_f32_e32 v49, v37, v19
	v_mul_f32_e32 v50, v36, v19
	s_waitcnt vmcnt(0)
	v_mul_f32_e32 v51, v39, v13
	v_mul_f32_e32 v52, v38, v13
	s_waitcnt lgkmcnt(0)
	v_mul_f32_e32 v53, v25, v15
	v_mul_f32_e32 v54, v24, v15
	v_fma_f32 v34, v34, v16, -v40
	v_fmac_f32_e32 v41, v35, v16
	v_fma_f32 v35, v36, v18, -v49
	v_fmac_f32_e32 v50, v37, v18
	;; [unrolled: 2-line block ×3, first 2 shown]
	v_fmac_f32_e32 v52, v39, v12
	v_fma_f32 v40, v24, v14, -v53
	v_add_f32_e32 v24, v32, v34
	v_add_f32_e32 v25, v35, v36
	v_sub_f32_e32 v37, v34, v35
	v_add_f32_e32 v56, v33, v41
	v_sub_f32_e32 v38, v40, v36
	v_add_f32_e32 v39, v34, v40
	v_add_f32_e32 v57, v50, v52
	;; [unrolled: 1-line block ×3, first 2 shown]
	v_sub_f32_e32 v49, v41, v54
	v_sub_f32_e32 v51, v50, v52
	;; [unrolled: 1-line block ×7, first 2 shown]
	v_add_f32_e32 v35, v24, v35
	v_fma_f32 v24, -0.5, v25, v32
	v_add_f32_e32 v63, v37, v38
	v_fmac_f32_e32 v32, -0.5, v39
	v_add_f32_e32 v37, v56, v50
	v_fma_f32 v25, -0.5, v57, v33
	v_fmac_f32_e32 v33, -0.5, v61
	v_sub_f32_e32 v55, v36, v40
	v_sub_f32_e32 v41, v50, v41
	;; [unrolled: 1-line block ×3, first 2 shown]
	v_add_f32_e32 v50, v34, v60
	v_add_f32_e32 v34, v35, v36
	v_fmamk_f32 v36, v49, 0x3f737871, v24
	v_fmac_f32_e32 v24, 0xbf737871, v49
	v_fmamk_f32 v38, v51, 0xbf737871, v32
	v_fmac_f32_e32 v32, 0x3f737871, v51
	v_add_f32_e32 v35, v37, v52
	v_fmamk_f32 v37, v58, 0xbf737871, v25
	v_fmac_f32_e32 v25, 0x3f737871, v58
	v_fmamk_f32 v39, v59, 0x3f737871, v33
	v_fmac_f32_e32 v33, 0xbf737871, v59
	v_add_f32_e32 v53, v53, v55
	v_add_f32_e32 v41, v41, v62
	v_fmac_f32_e32 v36, 0x3f167918, v51
	v_fmac_f32_e32 v24, 0xbf167918, v51
	;; [unrolled: 1-line block ×8, first 2 shown]
	v_add_f32_e32 v34, v34, v40
	v_add_f32_e32 v35, v35, v54
	v_fmac_f32_e32 v36, 0x3e9e377a, v63
	v_fmac_f32_e32 v24, 0x3e9e377a, v63
	v_fmac_f32_e32 v38, 0x3e9e377a, v53
	v_fmac_f32_e32 v32, 0x3e9e377a, v53
	v_fmac_f32_e32 v37, 0x3e9e377a, v50
	v_fmac_f32_e32 v25, 0x3e9e377a, v50
	v_fmac_f32_e32 v39, 0x3e9e377a, v41
	v_fmac_f32_e32 v33, 0x3e9e377a, v41
	s_and_saveexec_b32 s1, s0
	s_cbranch_execz .LBB0_15
; %bb.14:
	v_add_nc_u32_e32 v40, 0x800, v43
	ds_write2_b64 v43, v[34:35], v[36:37] offset1:150
	ds_write2_b64 v40, v[38:39], v[32:33] offset0:44 offset1:194
	ds_write_b64 v43, v[24:25] offset:4800
.LBB0_15:
	s_or_b32 exec_lo, exec_lo, s1
	s_waitcnt lgkmcnt(0)
	s_barrier
	buffer_gl0_inv
	s_and_saveexec_b32 s2, vcc_lo
	s_cbranch_execz .LBB0_17
; %bb.16:
	v_add_co_u32 v53, s1, s14, v43
	v_add_co_ci_u32_e64 v54, null, s15, 0, s1
	v_add_nc_u32_e32 v85, 0x400, v43
	v_add_co_u32 v40, s1, 0x1000, v53
	v_add_co_ci_u32_e64 v41, s1, 0, v54, s1
	v_add_co_u32 v49, s1, 0x2800, v53
	v_add_co_ci_u32_e64 v50, s1, 0, v54, s1
	global_load_dwordx2 v[40:41], v[40:41], off offset:1904
	v_add_co_u32 v51, s1, 0x1770, v53
	v_add_co_ci_u32_e64 v52, s1, 0, v54, s1
	s_clause 0x1
	global_load_dwordx2 v[65:66], v[49:50], off offset:1160
	global_load_dwordx2 v[67:68], v[51:52], off offset:600
	v_add_co_u32 v53, s1, 0x2000, v53
	v_add_co_ci_u32_e64 v54, s1, 0, v54, s1
	s_clause 0x6
	global_load_dwordx2 v[69:70], v[51:52], off offset:1200
	global_load_dwordx2 v[71:72], v[51:52], off offset:1800
	;; [unrolled: 1-line block ×7, first 2 shown]
	ds_read_b64 v[49:50], v43
	ds_read_b64 v[83:84], v43 offset:5400
	v_add_nc_u32_e32 v86, 0x800, v43
	v_add_nc_u32_e32 v87, 0x1000, v43
	s_waitcnt vmcnt(9) lgkmcnt(1)
	v_mul_f32_e32 v51, v50, v41
	v_mul_f32_e32 v52, v49, v41
	v_fma_f32 v51, v49, v40, -v51
	v_fmac_f32_e32 v52, v50, v40
	s_waitcnt vmcnt(8) lgkmcnt(0)
	v_mul_f32_e32 v40, v84, v66
	v_mul_f32_e32 v41, v83, v66
	ds_write_b64 v43, v[51:52]
	ds_read2_b64 v[49:52], v43 offset0:75 offset1:150
	ds_read2_b64 v[53:56], v85 offset0:97 offset1:172
	;; [unrolled: 1-line block ×4, first 2 shown]
	v_fma_f32 v40, v83, v65, -v40
	v_fmac_f32_e32 v41, v84, v65
	s_waitcnt vmcnt(7) lgkmcnt(3)
	v_mul_f32_e32 v66, v50, v68
	v_mul_f32_e32 v83, v49, v68
	s_waitcnt vmcnt(6)
	v_mul_f32_e32 v88, v52, v70
	v_mul_f32_e32 v68, v51, v70
	s_waitcnt vmcnt(5) lgkmcnt(2)
	v_mul_f32_e32 v89, v54, v72
	v_mul_f32_e32 v70, v53, v72
	s_waitcnt vmcnt(4)
	v_mul_f32_e32 v90, v56, v74
	v_mul_f32_e32 v72, v55, v74
	;; [unrolled: 6-line block ×4, first 2 shown]
	v_fma_f32 v82, v49, v67, -v66
	v_fmac_f32_e32 v83, v50, v67
	v_fma_f32 v67, v51, v69, -v88
	v_fmac_f32_e32 v68, v52, v69
	;; [unrolled: 2-line block ×8, first 2 shown]
	ds_write2_b64 v43, v[82:83], v[67:68] offset0:75 offset1:150
	ds_write2_b64 v85, v[69:70], v[71:72] offset0:97 offset1:172
	;; [unrolled: 1-line block ×4, first 2 shown]
	ds_write_b64 v43, v[40:41] offset:5400
.LBB0_17:
	s_or_b32 exec_lo, exec_lo, s2
	s_waitcnt lgkmcnt(0)
	s_barrier
	buffer_gl0_inv
	s_and_saveexec_b32 s1, vcc_lo
	s_cbranch_execz .LBB0_19
; %bb.18:
	v_add_nc_u32_e32 v20, 0x800, v43
	ds_read2_b64 v[38:41], v43 offset0:150 offset1:225
	v_add_nc_u32_e32 v21, 0xc00, v43
	v_add_nc_u32_e32 v22, 0x1000, v43
	ds_read2_b64 v[34:37], v43 offset1:75
	ds_read2_b64 v[24:27], v20 offset0:44 offset1:119
	ds_read2_b64 v[28:31], v21 offset0:66 offset1:141
	;; [unrolled: 1-line block ×3, first 2 shown]
	s_waitcnt lgkmcnt(4)
	v_mov_b32_e32 v32, v40
	v_mov_b32_e32 v33, v41
.LBB0_19:
	s_or_b32 exec_lo, exec_lo, s1
	s_waitcnt lgkmcnt(3)
	v_add_f32_e32 v41, v34, v38
	s_waitcnt lgkmcnt(1)
	v_add_f32_e32 v40, v24, v28
	v_sub_f32_e32 v49, v38, v24
	s_waitcnt lgkmcnt(0)
	v_sub_f32_e32 v50, v20, v28
	v_add_f32_e32 v53, v38, v20
	v_add_f32_e32 v54, v41, v24
	v_sub_f32_e32 v52, v39, v21
	v_sub_f32_e32 v51, v25, v29
	v_fma_f32 v40, -0.5, v40, v34
	v_add_f32_e32 v56, v49, v50
	v_fmac_f32_e32 v34, -0.5, v53
	v_add_f32_e32 v49, v54, v28
	v_add_f32_e32 v54, v35, v39
	v_fmamk_f32 v41, v52, 0xbf737871, v40
	v_fmac_f32_e32 v40, 0x3f737871, v52
	v_fmamk_f32 v50, v51, 0x3f737871, v34
	v_add_f32_e32 v57, v25, v29
	v_fmac_f32_e32 v34, 0xbf737871, v51
	v_add_f32_e32 v54, v54, v25
	v_sub_f32_e32 v55, v24, v38
	v_fmac_f32_e32 v41, 0xbf167918, v51
	v_sub_f32_e32 v53, v28, v20
	v_add_f32_e32 v49, v49, v20
	v_fmac_f32_e32 v40, 0x3f167918, v51
	v_fmac_f32_e32 v50, 0xbf167918, v52
	v_fma_f32 v51, -0.5, v57, v35
	v_sub_f32_e32 v20, v38, v20
	v_fmac_f32_e32 v34, 0x3f167918, v52
	v_add_f32_e32 v52, v54, v29
	v_add_f32_e32 v54, v39, v21
	;; [unrolled: 1-line block ×3, first 2 shown]
	v_fmamk_f32 v38, v20, 0x3f737871, v51
	v_sub_f32_e32 v24, v24, v28
	v_sub_f32_e32 v28, v39, v25
	v_sub_f32_e32 v55, v21, v29
	v_fmac_f32_e32 v35, -0.5, v54
	v_add_f32_e32 v52, v52, v21
	v_fmac_f32_e32 v51, 0xbf737871, v20
	v_sub_f32_e32 v25, v25, v39
	v_sub_f32_e32 v21, v29, v21
	v_add_f32_e32 v29, v36, v32
	v_fmac_f32_e32 v50, 0x3e9e377a, v53
	v_fmac_f32_e32 v34, 0x3e9e377a, v53
	;; [unrolled: 1-line block ×3, first 2 shown]
	v_add_f32_e32 v28, v28, v55
	v_fmamk_f32 v53, v24, 0xbf737871, v35
	v_fmac_f32_e32 v51, 0xbf167918, v24
	v_add_f32_e32 v21, v25, v21
	v_fmac_f32_e32 v35, 0x3f737871, v24
	v_add_f32_e32 v24, v29, v26
	v_add_f32_e32 v25, v26, v30
	v_fmac_f32_e32 v38, 0x3e9e377a, v28
	v_fmac_f32_e32 v53, 0x3f167918, v20
	;; [unrolled: 1-line block ×4, first 2 shown]
	v_add_f32_e32 v20, v24, v30
	v_fma_f32 v25, -0.5, v25, v36
	v_add_f32_e32 v24, v32, v22
	v_sub_f32_e32 v28, v33, v23
	v_fmac_f32_e32 v53, 0x3e9e377a, v21
	v_fmac_f32_e32 v35, 0x3e9e377a, v21
	v_add_f32_e32 v39, v20, v22
	v_sub_f32_e32 v20, v27, v31
	v_fmac_f32_e32 v36, -0.5, v24
	v_fmamk_f32 v21, v28, 0xbf737871, v25
	v_sub_f32_e32 v24, v32, v26
	v_sub_f32_e32 v29, v22, v30
	v_fmac_f32_e32 v25, 0x3f737871, v28
	v_fmamk_f32 v58, v20, 0x3f737871, v36
	v_fmac_f32_e32 v21, 0xbf167918, v20
	v_sub_f32_e32 v54, v26, v32
	v_add_f32_e32 v24, v24, v29
	v_fmac_f32_e32 v25, 0x3f167918, v20
	v_sub_f32_e32 v55, v30, v22
	v_fmac_f32_e32 v36, 0xbf737871, v20
	v_add_f32_e32 v20, v27, v31
	v_fmac_f32_e32 v21, 0x3e9e377a, v24
	v_fmac_f32_e32 v25, 0x3e9e377a, v24
	v_add_f32_e32 v24, v33, v23
	v_fmac_f32_e32 v58, 0xbf167918, v28
	v_add_f32_e32 v29, v54, v55
	v_fmac_f32_e32 v36, 0x3f167918, v28
	v_fma_f32 v28, -0.5, v20, v37
	v_sub_f32_e32 v20, v32, v22
	v_add_f32_e32 v22, v37, v33
	v_sub_f32_e32 v26, v26, v30
	v_fmac_f32_e32 v37, -0.5, v24
	v_fmac_f32_e32 v41, 0x3e9e377a, v56
	v_fmac_f32_e32 v40, 0x3e9e377a, v56
	;; [unrolled: 1-line block ×4, first 2 shown]
	v_fmamk_f32 v29, v20, 0x3f737871, v28
	v_sub_f32_e32 v24, v33, v27
	v_sub_f32_e32 v30, v23, v31
	v_fmamk_f32 v56, v26, 0xbf737871, v37
	v_sub_f32_e32 v32, v27, v33
	v_sub_f32_e32 v33, v31, v23
	v_fmac_f32_e32 v37, 0x3f737871, v26
	v_fmac_f32_e32 v28, 0xbf737871, v20
	;; [unrolled: 1-line block ×3, first 2 shown]
	v_add_f32_e32 v24, v24, v30
	v_fmac_f32_e32 v56, 0x3f167918, v20
	v_add_f32_e32 v30, v32, v33
	v_fmac_f32_e32 v37, 0xbf167918, v20
	v_fmac_f32_e32 v28, 0xbf167918, v26
	v_add_f32_e32 v20, v22, v27
	v_fmac_f32_e32 v29, 0x3e9e377a, v24
	v_fmac_f32_e32 v56, 0x3e9e377a, v30
	;; [unrolled: 1-line block ×4, first 2 shown]
	v_add_f32_e32 v20, v20, v31
	v_mul_f32_e32 v32, 0xbf167918, v29
	v_mul_f32_e32 v30, 0xbf737871, v56
	;; [unrolled: 1-line block ×8, first 2 shown]
	v_add_f32_e32 v31, v20, v23
	v_fmac_f32_e32 v32, 0x3f4f1bbd, v21
	v_fmac_f32_e32 v30, 0x3e9e377a, v58
	;; [unrolled: 1-line block ×8, first 2 shown]
	v_add_f32_e32 v20, v49, v39
	v_add_f32_e32 v22, v41, v32
	;; [unrolled: 1-line block ×10, first 2 shown]
	s_barrier
	buffer_gl0_inv
	s_and_saveexec_b32 s1, vcc_lo
	s_cbranch_execz .LBB0_21
; %bb.20:
	v_sub_f32_e32 v59, v51, v57
	v_sub_f32_e32 v57, v35, v37
	v_mov_b32_e32 v35, 3
	v_sub_f32_e32 v31, v52, v31
	v_sub_f32_e32 v52, v50, v30
	;; [unrolled: 1-line block ×4, first 2 shown]
	v_lshlrev_b32_sdwa v35, v35, v47 dst_sel:DWORD dst_unused:UNUSED_PAD src0_sel:DWORD src1_sel:WORD_0
	v_sub_f32_e32 v51, v38, v55
	v_sub_f32_e32 v50, v41, v32
	;; [unrolled: 1-line block ×4, first 2 shown]
	ds_write_b128 v35, v[20:23]
	ds_write_b128 v35, v[24:27] offset:16
	ds_write_b128 v35, v[28:31] offset:32
	;; [unrolled: 1-line block ×4, first 2 shown]
.LBB0_21:
	s_or_b32 exec_lo, exec_lo, s1
	s_waitcnt lgkmcnt(0)
	s_barrier
	buffer_gl0_inv
	s_and_saveexec_b32 s1, s0
	s_cbranch_execz .LBB0_23
; %bb.22:
	v_add_nc_u32_e32 v24, 0x800, v43
	ds_read2_b64 v[20:23], v43 offset1:150
	ds_read2_b64 v[24:27], v24 offset0:44 offset1:194
	ds_read_b64 v[28:29], v43 offset:4800
.LBB0_23:
	s_or_b32 exec_lo, exec_lo, s1
	s_waitcnt lgkmcnt(1)
	v_mul_f32_e32 v31, v7, v25
	v_mul_f32_e32 v30, v1, v27
	;; [unrolled: 1-line block ×5, first 2 shown]
	v_fmac_f32_e32 v31, v6, v24
	v_fmac_f32_e32 v30, v0, v26
	v_mul_f32_e32 v24, v1, v26
	s_waitcnt lgkmcnt(0)
	v_mul_f32_e32 v1, v3, v29
	v_fma_f32 v32, v4, v23, -v32
	v_mul_f32_e32 v23, v3, v28
	v_add_f32_e32 v3, v31, v30
	v_fmac_f32_e32 v5, v4, v22
	v_fmac_f32_e32 v1, v2, v28
	v_fma_f32 v7, v6, v25, -v7
	v_fma_f32 v6, v2, v29, -v23
	v_fma_f32 v0, v0, v27, -v24
	v_fma_f32 v4, -0.5, v3, v20
	v_sub_f32_e32 v2, v5, v31
	v_add_f32_e32 v3, v5, v1
	v_sub_f32_e32 v23, v1, v30
	v_sub_f32_e32 v27, v31, v5
	v_sub_f32_e32 v29, v30, v1
	v_sub_f32_e32 v25, v32, v6
	v_fma_f32 v24, -0.5, v3, v20
	v_add_f32_e32 v28, v2, v23
	v_add_f32_e32 v3, v7, v0
	;; [unrolled: 1-line block ×3, first 2 shown]
	v_sub_f32_e32 v26, v7, v0
	v_add_f32_e32 v27, v27, v29
	v_sub_f32_e32 v33, v5, v1
	v_fma_f32 v29, -0.5, v3, v21
	v_sub_f32_e32 v35, v31, v30
	v_fma_f32 v34, -0.5, v23, v21
	v_fmamk_f32 v22, v25, 0x3f737871, v4
	v_fmamk_f32 v2, v26, 0xbf737871, v24
	v_sub_f32_e32 v36, v32, v7
	v_sub_f32_e32 v37, v6, v0
	v_fmamk_f32 v23, v33, 0xbf737871, v29
	v_sub_f32_e32 v38, v7, v32
	v_sub_f32_e32 v39, v0, v6
	v_fmamk_f32 v3, v35, 0x3f737871, v34
	v_fmac_f32_e32 v22, 0x3f167918, v26
	v_fmac_f32_e32 v2, 0x3f167918, v25
	v_add_f32_e32 v36, v36, v37
	v_fmac_f32_e32 v23, 0xbf167918, v35
	v_add_f32_e32 v37, v38, v39
	v_fmac_f32_e32 v3, 0xbf167918, v33
	v_fmac_f32_e32 v22, 0x3e9e377a, v28
	;; [unrolled: 1-line block ×5, first 2 shown]
	s_barrier
	buffer_gl0_inv
	s_and_saveexec_b32 s1, s0
	s_cbranch_execz .LBB0_25
; %bb.24:
	v_mul_f32_e32 v41, 0x3f737871, v33
	v_mul_f32_e32 v40, 0x3f737871, v35
	;; [unrolled: 1-line block ×5, first 2 shown]
	v_add_f32_e32 v29, v29, v41
	v_add_f32_e32 v32, v21, v32
	;; [unrolled: 1-line block ×3, first 2 shown]
	v_mul_f32_e32 v39, 0x3f167918, v26
	v_mul_f32_e32 v26, 0x3f737871, v26
	v_add_f32_e32 v29, v35, v29
	v_add_f32_e32 v7, v32, v7
	v_sub_f32_e32 v4, v4, v38
	v_add_f32_e32 v20, v20, v31
	v_mul_f32_e32 v33, 0x3f167918, v33
	v_add_f32_e32 v21, v36, v29
	v_mov_b32_e32 v29, 50
	v_sub_f32_e32 v34, v34, v40
	v_mul_f32_e32 v25, 0x3f167918, v25
	v_add_f32_e32 v24, v26, v24
	v_mul_f32_e32 v28, 0x3e9e377a, v28
	v_add_f32_e32 v0, v7, v0
	v_sub_f32_e32 v4, v4, v39
	v_add_f32_e32 v26, v20, v30
	v_mul_u32_u24_sdwa v29, v46, v29 dst_sel:DWORD dst_unused:UNUSED_PAD src0_sel:WORD_0 src1_sel:DWORD
	v_mul_f32_e32 v37, 0x3e9e377a, v37
	v_add_f32_e32 v33, v33, v34
	v_mul_f32_e32 v27, 0x3e9e377a, v27
	v_sub_f32_e32 v24, v24, v25
	v_add_f32_e32 v7, v0, v6
	v_add_f32_e32 v20, v28, v4
	;; [unrolled: 1-line block ×3, first 2 shown]
	v_add_lshl_u32 v0, v29, v45, 3
	v_add_f32_e32 v5, v37, v33
	v_add_f32_e32 v4, v27, v24
	ds_write2_b64 v0, v[6:7], v[20:21] offset1:10
	ds_write2_b64 v0, v[4:5], v[2:3] offset0:20 offset1:30
	ds_write_b64 v0, v[22:23] offset:320
.LBB0_25:
	s_or_b32 exec_lo, exec_lo, s1
	s_waitcnt lgkmcnt(0)
	s_barrier
	buffer_gl0_inv
	ds_read2_b64 v[4:7], v43 offset1:250
	ds_read_b64 v[0:1], v43 offset:4000
	s_waitcnt lgkmcnt(0)
	s_barrier
	buffer_gl0_inv
	v_mul_f32_e32 v20, v9, v7
	v_mul_f32_e32 v21, v11, v1
	;; [unrolled: 1-line block ×4, first 2 shown]
	v_fmac_f32_e32 v20, v8, v6
	v_fmac_f32_e32 v21, v10, v0
	v_fma_f32 v0, v8, v7, -v9
	v_fma_f32 v6, v10, v1, -v11
	v_add_f32_e32 v7, v4, v20
	v_add_f32_e32 v1, v20, v21
	;; [unrolled: 1-line block ×4, first 2 shown]
	v_sub_f32_e32 v9, v0, v6
	v_sub_f32_e32 v11, v20, v21
	v_fma_f32 v0, -0.5, v1, v4
	v_add_f32_e32 v4, v7, v21
	v_fma_f32 v1, -0.5, v8, v5
	v_add_f32_e32 v5, v10, v6
	v_fmamk_f32 v6, v9, 0xbf5db3d7, v0
	v_fmac_f32_e32 v0, 0x3f5db3d7, v9
	v_fmamk_f32 v7, v11, 0x3f5db3d7, v1
	v_fmac_f32_e32 v1, 0xbf5db3d7, v11
	ds_write2_b64 v48, v[4:5], v[6:7] offset1:50
	ds_write_b64 v48, v[0:1] offset:800
	s_waitcnt lgkmcnt(0)
	s_barrier
	buffer_gl0_inv
	s_and_saveexec_b32 s1, s0
	s_cbranch_execz .LBB0_27
; %bb.26:
	v_add_nc_u32_e32 v0, 0x800, v43
	ds_read2_b64 v[4:7], v43 offset1:150
	ds_read2_b64 v[0:3], v0 offset0:44 offset1:194
	ds_read_b64 v[22:23], v43 offset:4800
.LBB0_27:
	s_or_b32 exec_lo, exec_lo, s1
	s_and_saveexec_b32 s1, s0
	s_cbranch_execz .LBB0_29
; %bb.28:
	s_waitcnt lgkmcnt(2)
	v_mul_f32_e32 v8, v17, v6
	s_waitcnt lgkmcnt(0)
	v_mul_f32_e32 v9, v15, v22
	v_mul_f32_e32 v10, v19, v0
	;; [unrolled: 1-line block ×4, first 2 shown]
	v_fma_f32 v20, v16, v7, -v8
	v_fma_f32 v9, v14, v23, -v9
	;; [unrolled: 1-line block ×3, first 2 shown]
	v_mul_f32_e32 v1, v13, v2
	v_fmac_f32_e32 v11, v18, v0
	v_fmac_f32_e32 v19, v12, v2
	v_add_f32_e32 v0, v20, v9
	v_mul_f32_e32 v7, v17, v7
	v_mul_f32_e32 v13, v15, v23
	v_fma_f32 v2, v12, v3, -v1
	v_sub_f32_e32 v12, v11, v19
	v_fma_f32 v1, -0.5, v0, v5
	v_fmac_f32_e32 v7, v16, v6
	v_fmac_f32_e32 v13, v14, v22
	v_sub_f32_e32 v0, v10, v20
	v_sub_f32_e32 v6, v2, v9
	v_add_f32_e32 v8, v10, v2
	v_fmamk_f32 v3, v12, 0x3f737871, v1
	v_sub_f32_e32 v14, v7, v13
	v_fmac_f32_e32 v1, 0xbf737871, v12
	v_add_f32_e32 v0, v0, v6
	v_fma_f32 v6, -0.5, v8, v5
	v_add_f32_e32 v5, v5, v20
	v_fmac_f32_e32 v3, 0xbf167918, v14
	v_sub_f32_e32 v15, v20, v10
	v_sub_f32_e32 v16, v9, v2
	v_fmamk_f32 v8, v14, 0xbf737871, v6
	v_fmac_f32_e32 v1, 0x3f167918, v14
	v_fmac_f32_e32 v6, 0x3f737871, v14
	v_add_f32_e32 v5, v5, v10
	v_add_f32_e32 v14, v15, v16
	v_fmac_f32_e32 v8, 0xbf167918, v12
	v_fmac_f32_e32 v3, 0x3e9e377a, v0
	v_fmac_f32_e32 v6, 0x3f167918, v12
	v_fmac_f32_e32 v1, 0x3e9e377a, v0
	v_add_f32_e32 v0, v7, v13
	v_add_f32_e32 v5, v5, v2
	v_add_f32_e32 v16, v11, v19
	v_fmac_f32_e32 v8, 0x3e9e377a, v14
	v_fmac_f32_e32 v6, 0x3e9e377a, v14
	v_sub_f32_e32 v12, v11, v7
	v_sub_f32_e32 v14, v19, v13
	v_fma_f32 v0, -0.5, v0, v4
	v_sub_f32_e32 v15, v10, v2
	v_add_f32_e32 v10, v5, v9
	v_sub_f32_e32 v9, v20, v9
	v_fma_f32 v5, -0.5, v16, v4
	v_add_f32_e32 v4, v4, v7
	v_add_f32_e32 v12, v12, v14
	v_sub_f32_e32 v14, v7, v11
	v_sub_f32_e32 v16, v13, v19
	v_fmamk_f32 v7, v9, 0x3f737871, v5
	v_fmac_f32_e32 v5, 0xbf737871, v9
	v_add_f32_e32 v4, v4, v11
	v_fmamk_f32 v2, v15, 0xbf737871, v0
	v_fmac_f32_e32 v0, 0x3f737871, v15
	v_add_f32_e32 v11, v14, v16
	v_fmac_f32_e32 v5, 0xbf167918, v15
	v_add_f32_e32 v4, v4, v19
	v_fmac_f32_e32 v2, 0x3f167918, v9
	v_fmac_f32_e32 v0, 0xbf167918, v9
	;; [unrolled: 1-line block ×4, first 2 shown]
	v_add_f32_e32 v9, v4, v13
	v_fmac_f32_e32 v2, 0x3e9e377a, v12
	v_fmac_f32_e32 v0, 0x3e9e377a, v12
	v_add_nc_u32_e32 v4, 0x800, v43
	v_fmac_f32_e32 v7, 0x3e9e377a, v11
	ds_write2_b64 v43, v[9:10], v[5:6] offset1:150
	ds_write2_b64 v4, v[0:1], v[2:3] offset0:44 offset1:194
	ds_write_b64 v43, v[7:8] offset:4800
.LBB0_29:
	s_or_b32 exec_lo, exec_lo, s1
	s_waitcnt lgkmcnt(0)
	s_barrier
	buffer_gl0_inv
	s_and_b32 exec_lo, exec_lo, vcc_lo
	s_cbranch_execz .LBB0_31
; %bb.30:
	v_add_co_u32 v2, s0, s14, v43
	v_add_co_ci_u32_e64 v3, null, s15, 0, s0
	s_clause 0x3
	global_load_dwordx2 v[16:17], v43, s[14:15]
	global_load_dwordx2 v[18:19], v43, s[14:15] offset:600
	global_load_dwordx2 v[20:21], v43, s[14:15] offset:1200
	;; [unrolled: 1-line block ×3, first 2 shown]
	v_add_co_u32 v0, vcc_lo, 0x800, v2
	v_add_co_ci_u32_e32 v1, vcc_lo, 0, v3, vcc_lo
	v_add_co_u32 v2, vcc_lo, 0x1000, v2
	v_add_co_ci_u32_e32 v3, vcc_lo, 0, v3, vcc_lo
	s_clause 0x5
	global_load_dwordx2 v[24:25], v[0:1], off offset:352
	global_load_dwordx2 v[26:27], v[0:1], off offset:952
	;; [unrolled: 1-line block ×6, first 2 shown]
	v_mad_u64_u32 v[4:5], null, s6, v42, 0
	v_mad_u64_u32 v[6:7], null, s4, v44, 0
	ds_read_b64 v[36:37], v43
	ds_read_b64 v[38:39], v43 offset:5400
	v_add_nc_u32_e32 v12, 0x1000, v43
	s_mov_b32 s0, 0xc3ece2a5
	v_mov_b32_e32 v0, v5
	s_mov_b32 s1, 0x3f55d867
	v_mov_b32_e32 v1, v7
	ds_read2_b64 v[12:15], v12 offset0:13 offset1:88
	s_mul_i32 s2, s5, 0x258
	s_mul_hi_u32 s3, s4, 0x258
	s_mulk_i32 s4, 0x258
	v_mad_u64_u32 v[7:8], null, s7, v42, v[0:1]
	v_mad_u64_u32 v[8:9], null, s5, v44, v[1:2]
	ds_read2_b64 v[0:3], v43 offset0:75 offset1:150
	v_add_nc_u32_e32 v9, 0x800, v43
	s_add_i32 s3, s3, s2
	v_mov_b32_e32 v5, v7
	v_mov_b32_e32 v7, v8
	v_add_nc_u32_e32 v8, 0x400, v43
	v_lshlrev_b64 v[4:5], 3, v[4:5]
	v_lshlrev_b64 v[6:7], 3, v[6:7]
	v_add_co_u32 v4, vcc_lo, s12, v4
	v_add_co_ci_u32_e32 v5, vcc_lo, s13, v5, vcc_lo
	v_add_co_u32 v40, vcc_lo, v4, v6
	v_add_co_ci_u32_e32 v41, vcc_lo, v5, v7, vcc_lo
	ds_read2_b64 v[4:7], v8 offset0:97 offset1:172
	ds_read2_b64 v[8:11], v9 offset0:119 offset1:194
	v_add_co_u32 v42, vcc_lo, v40, s4
	v_add_co_ci_u32_e32 v43, vcc_lo, s3, v41, vcc_lo
	v_add_co_u32 v44, vcc_lo, v42, s4
	v_add_co_ci_u32_e32 v45, vcc_lo, s3, v43, vcc_lo
	;; [unrolled: 2-line block ×4, first 2 shown]
	s_waitcnt vmcnt(9) lgkmcnt(5)
	v_mul_f32_e32 v50, v37, v17
	s_waitcnt vmcnt(8) lgkmcnt(2)
	v_mul_f32_e32 v51, v1, v19
	s_waitcnt vmcnt(7)
	v_mul_f32_e32 v52, v3, v21
	s_waitcnt vmcnt(6) lgkmcnt(1)
	v_mul_f32_e32 v53, v5, v23
	v_mul_f32_e32 v17, v36, v17
	;; [unrolled: 1-line block ×3, first 2 shown]
	v_fmac_f32_e32 v50, v36, v16
	v_mul_f32_e32 v23, v4, v23
	v_fmac_f32_e32 v51, v0, v18
	v_fmac_f32_e32 v52, v2, v20
	v_mul_f32_e32 v21, v2, v21
	v_fmac_f32_e32 v53, v4, v22
	v_fma_f32 v16, v16, v37, -v17
	v_fma_f32 v17, v18, v1, -v19
	v_cvt_f64_f32_e32 v[0:1], v50
	s_waitcnt vmcnt(5)
	v_mul_f32_e32 v50, v7, v25
	v_mul_f32_e32 v25, v6, v25
	v_fma_f32 v36, v22, v5, -v23
	v_cvt_f64_f32_e32 v[4:5], v51
	s_waitcnt vmcnt(4) lgkmcnt(0)
	v_mul_f32_e32 v51, v9, v27
	v_mul_f32_e32 v27, v8, v27
	v_cvt_f64_f32_e32 v[18:19], v52
	s_waitcnt vmcnt(3)
	v_mul_f32_e32 v52, v11, v29
	v_mul_f32_e32 v29, v10, v29
	v_fma_f32 v20, v20, v3, -v21
	v_cvt_f64_f32_e32 v[22:23], v53
	s_waitcnt vmcnt(2)
	v_mul_f32_e32 v53, v13, v31
	v_mul_f32_e32 v31, v12, v31
	s_waitcnt vmcnt(1)
	v_mul_f32_e32 v54, v15, v33
	v_mul_f32_e32 v33, v14, v33
	;; [unrolled: 3-line block ×3, first 2 shown]
	v_fmac_f32_e32 v50, v6, v24
	v_fma_f32 v24, v24, v7, -v25
	v_cvt_f64_f32_e32 v[2:3], v16
	v_fmac_f32_e32 v51, v8, v26
	v_fma_f32 v25, v26, v9, -v27
	v_cvt_f64_f32_e32 v[16:17], v17
	;; [unrolled: 3-line block ×4, first 2 shown]
	v_fmac_f32_e32 v54, v14, v32
	v_fma_f32 v32, v32, v15, -v33
	v_fmac_f32_e32 v55, v38, v34
	v_fma_f32 v38, v34, v39, -v35
	v_cvt_f64_f32_e32 v[6:7], v50
	v_cvt_f64_f32_e32 v[8:9], v24
	;; [unrolled: 1-line block ×12, first 2 shown]
	v_mul_f64 v[0:1], v[0:1], s[0:1]
	v_mul_f64 v[2:3], v[2:3], s[0:1]
	;; [unrolled: 1-line block ×8, first 2 shown]
	v_add_co_u32 v50, vcc_lo, v48, s4
	v_mul_f64 v[6:7], v[6:7], s[0:1]
	v_mul_f64 v[8:9], v[8:9], s[0:1]
	;; [unrolled: 1-line block ×12, first 2 shown]
	v_cvt_f32_f64_e32 v0, v[0:1]
	v_cvt_f32_f64_e32 v1, v[2:3]
	;; [unrolled: 1-line block ×4, first 2 shown]
	v_add_co_ci_u32_e32 v51, vcc_lo, s3, v49, vcc_lo
	v_cvt_f32_f64_e32 v4, v[18:19]
	v_cvt_f32_f64_e32 v5, v[20:21]
	;; [unrolled: 1-line block ×6, first 2 shown]
	v_add_co_u32 v52, vcc_lo, v50, s4
	v_cvt_f32_f64_e32 v8, v[10:11]
	v_cvt_f32_f64_e32 v9, v[12:13]
	;; [unrolled: 1-line block ×4, first 2 shown]
	v_add_co_ci_u32_e32 v53, vcc_lo, s3, v51, vcc_lo
	v_cvt_f32_f64_e32 v12, v[26:27]
	v_cvt_f32_f64_e32 v13, v[28:29]
	;; [unrolled: 1-line block ×6, first 2 shown]
	v_add_co_u32 v20, vcc_lo, v52, s4
	v_add_co_ci_u32_e32 v21, vcc_lo, s3, v53, vcc_lo
	v_add_co_u32 v22, vcc_lo, v20, s4
	v_add_co_ci_u32_e32 v23, vcc_lo, s3, v21, vcc_lo
	;; [unrolled: 2-line block ×3, first 2 shown]
	global_store_dwordx2 v[40:41], v[0:1], off
	global_store_dwordx2 v[42:43], v[2:3], off
	;; [unrolled: 1-line block ×10, first 2 shown]
.LBB0_31:
	s_endpgm
	.section	.rodata,"a",@progbits
	.p2align	6, 0x0
	.amdhsa_kernel bluestein_single_back_len750_dim1_sp_op_CI_CI
		.amdhsa_group_segment_fixed_size 6000
		.amdhsa_private_segment_fixed_size 0
		.amdhsa_kernarg_size 104
		.amdhsa_user_sgpr_count 6
		.amdhsa_user_sgpr_private_segment_buffer 1
		.amdhsa_user_sgpr_dispatch_ptr 0
		.amdhsa_user_sgpr_queue_ptr 0
		.amdhsa_user_sgpr_kernarg_segment_ptr 1
		.amdhsa_user_sgpr_dispatch_id 0
		.amdhsa_user_sgpr_flat_scratch_init 0
		.amdhsa_user_sgpr_private_segment_size 0
		.amdhsa_wavefront_size32 1
		.amdhsa_uses_dynamic_stack 0
		.amdhsa_system_sgpr_private_segment_wavefront_offset 0
		.amdhsa_system_sgpr_workgroup_id_x 1
		.amdhsa_system_sgpr_workgroup_id_y 0
		.amdhsa_system_sgpr_workgroup_id_z 0
		.amdhsa_system_sgpr_workgroup_info 0
		.amdhsa_system_vgpr_workitem_id 0
		.amdhsa_next_free_vgpr 95
		.amdhsa_next_free_sgpr 16
		.amdhsa_reserve_vcc 1
		.amdhsa_reserve_flat_scratch 0
		.amdhsa_float_round_mode_32 0
		.amdhsa_float_round_mode_16_64 0
		.amdhsa_float_denorm_mode_32 3
		.amdhsa_float_denorm_mode_16_64 3
		.amdhsa_dx10_clamp 1
		.amdhsa_ieee_mode 1
		.amdhsa_fp16_overflow 0
		.amdhsa_workgroup_processor_mode 1
		.amdhsa_memory_ordered 1
		.amdhsa_forward_progress 0
		.amdhsa_shared_vgpr_count 0
		.amdhsa_exception_fp_ieee_invalid_op 0
		.amdhsa_exception_fp_denorm_src 0
		.amdhsa_exception_fp_ieee_div_zero 0
		.amdhsa_exception_fp_ieee_overflow 0
		.amdhsa_exception_fp_ieee_underflow 0
		.amdhsa_exception_fp_ieee_inexact 0
		.amdhsa_exception_int_div_zero 0
	.end_amdhsa_kernel
	.text
.Lfunc_end0:
	.size	bluestein_single_back_len750_dim1_sp_op_CI_CI, .Lfunc_end0-bluestein_single_back_len750_dim1_sp_op_CI_CI
                                        ; -- End function
	.section	.AMDGPU.csdata,"",@progbits
; Kernel info:
; codeLenInByte = 7632
; NumSgprs: 18
; NumVgprs: 95
; ScratchSize: 0
; MemoryBound: 0
; FloatMode: 240
; IeeeMode: 1
; LDSByteSize: 6000 bytes/workgroup (compile time only)
; SGPRBlocks: 2
; VGPRBlocks: 11
; NumSGPRsForWavesPerEU: 18
; NumVGPRsForWavesPerEU: 95
; Occupancy: 10
; WaveLimiterHint : 1
; COMPUTE_PGM_RSRC2:SCRATCH_EN: 0
; COMPUTE_PGM_RSRC2:USER_SGPR: 6
; COMPUTE_PGM_RSRC2:TRAP_HANDLER: 0
; COMPUTE_PGM_RSRC2:TGID_X_EN: 1
; COMPUTE_PGM_RSRC2:TGID_Y_EN: 0
; COMPUTE_PGM_RSRC2:TGID_Z_EN: 0
; COMPUTE_PGM_RSRC2:TIDIG_COMP_CNT: 0
	.text
	.p2alignl 6, 3214868480
	.fill 48, 4, 3214868480
	.type	__hip_cuid_33a51e6783302038,@object ; @__hip_cuid_33a51e6783302038
	.section	.bss,"aw",@nobits
	.globl	__hip_cuid_33a51e6783302038
__hip_cuid_33a51e6783302038:
	.byte	0                               ; 0x0
	.size	__hip_cuid_33a51e6783302038, 1

	.ident	"AMD clang version 19.0.0git (https://github.com/RadeonOpenCompute/llvm-project roc-6.4.0 25133 c7fe45cf4b819c5991fe208aaa96edf142730f1d)"
	.section	".note.GNU-stack","",@progbits
	.addrsig
	.addrsig_sym __hip_cuid_33a51e6783302038
	.amdgpu_metadata
---
amdhsa.kernels:
  - .args:
      - .actual_access:  read_only
        .address_space:  global
        .offset:         0
        .size:           8
        .value_kind:     global_buffer
      - .actual_access:  read_only
        .address_space:  global
        .offset:         8
        .size:           8
        .value_kind:     global_buffer
      - .actual_access:  read_only
        .address_space:  global
        .offset:         16
        .size:           8
        .value_kind:     global_buffer
      - .actual_access:  read_only
        .address_space:  global
        .offset:         24
        .size:           8
        .value_kind:     global_buffer
      - .actual_access:  read_only
        .address_space:  global
        .offset:         32
        .size:           8
        .value_kind:     global_buffer
      - .offset:         40
        .size:           8
        .value_kind:     by_value
      - .address_space:  global
        .offset:         48
        .size:           8
        .value_kind:     global_buffer
      - .address_space:  global
        .offset:         56
        .size:           8
        .value_kind:     global_buffer
      - .address_space:  global
        .offset:         64
        .size:           8
        .value_kind:     global_buffer
      - .address_space:  global
        .offset:         72
        .size:           8
        .value_kind:     global_buffer
      - .offset:         80
        .size:           4
        .value_kind:     by_value
      - .address_space:  global
        .offset:         88
        .size:           8
        .value_kind:     global_buffer
      - .address_space:  global
        .offset:         96
        .size:           8
        .value_kind:     global_buffer
    .group_segment_fixed_size: 6000
    .kernarg_segment_align: 8
    .kernarg_segment_size: 104
    .language:       OpenCL C
    .language_version:
      - 2
      - 0
    .max_flat_workgroup_size: 250
    .name:           bluestein_single_back_len750_dim1_sp_op_CI_CI
    .private_segment_fixed_size: 0
    .sgpr_count:     18
    .sgpr_spill_count: 0
    .symbol:         bluestein_single_back_len750_dim1_sp_op_CI_CI.kd
    .uniform_work_group_size: 1
    .uses_dynamic_stack: false
    .vgpr_count:     95
    .vgpr_spill_count: 0
    .wavefront_size: 32
    .workgroup_processor_mode: 1
amdhsa.target:   amdgcn-amd-amdhsa--gfx1030
amdhsa.version:
  - 1
  - 2
...

	.end_amdgpu_metadata
